;; amdgpu-corpus repo=ROCm/rocFFT kind=compiled arch=gfx906 opt=O3
	.text
	.amdgcn_target "amdgcn-amd-amdhsa--gfx906"
	.amdhsa_code_object_version 6
	.protected	fft_rtc_back_len17_factors_17_wgs_120_tpt_1_sp_op_CI_CI_sbrc_erc_z_xy_aligned ; -- Begin function fft_rtc_back_len17_factors_17_wgs_120_tpt_1_sp_op_CI_CI_sbrc_erc_z_xy_aligned
	.globl	fft_rtc_back_len17_factors_17_wgs_120_tpt_1_sp_op_CI_CI_sbrc_erc_z_xy_aligned
	.p2align	8
	.type	fft_rtc_back_len17_factors_17_wgs_120_tpt_1_sp_op_CI_CI_sbrc_erc_z_xy_aligned,@function
fft_rtc_back_len17_factors_17_wgs_120_tpt_1_sp_op_CI_CI_sbrc_erc_z_xy_aligned: ; @fft_rtc_back_len17_factors_17_wgs_120_tpt_1_sp_op_CI_CI_sbrc_erc_z_xy_aligned
; %bb.0:
	s_load_dwordx8 s[8:15], s[4:5], 0x8
	v_add_u16_e32 v6, 0x78, v0
	v_mul_u32_u24_e32 v7, 0xf10, v6
	v_lshrrev_b32_e32 v44, 16, v7
	v_mul_lo_u16_e32 v7, 17, v44
	s_waitcnt lgkmcnt(0)
	s_load_dwordx4 s[0:3], s[10:11], 0x8
	s_load_dwordx4 s[16:19], s[12:13], 0x0
	s_load_dword s21, s[12:13], 0x10
	v_sub_u16_e32 v45, v6, v7
	v_mov_b32_e32 v17, 0
	s_waitcnt lgkmcnt(0)
	s_add_i32 s0, s0, -1
	s_mul_hi_u32 s0, s0, 0x88888889
	s_lshr_b32 s7, s0, 6
	s_add_i32 s10, s7, 1
	s_mul_i32 s11, s10, s2
	v_cvt_f32_u32_e32 v2, s11
	v_cvt_f32_u32_e32 v1, s10
	s_load_dwordx4 s[0:3], s[14:15], 0x0
	s_waitcnt lgkmcnt(0)
	s_sub_i32 s3, 0, s11
	v_rcp_iflag_f32_e32 v2, v2
	v_rcp_iflag_f32_e32 v1, v1
	v_mul_f32_e32 v2, 0x4f7ffffe, v2
	v_cvt_u32_f32_e32 v2, v2
	v_mul_f32_e32 v1, 0x4f7ffffe, v1
	v_cvt_u32_f32_e32 v1, v1
	v_readfirstlane_b32 s19, v2
	s_mul_i32 s3, s3, s19
	s_mul_hi_u32 s3, s19, s3
	s_add_i32 s19, s19, s3
	s_mul_hi_u32 s3, s6, s19
	s_mul_i32 s19, s3, s11
	s_sub_i32 s19, s6, s19
	s_add_i32 s22, s3, 1
	s_sub_i32 s23, s19, s11
	s_cmp_ge_u32 s19, s11
	s_cselect_b32 s3, s22, s3
	s_cselect_b32 s19, s23, s19
	s_add_i32 s22, s3, 1
	s_cmp_ge_u32 s19, s11
	v_readfirstlane_b32 s20, v1
	s_cselect_b32 s19, s22, s3
	s_not_b32 s3, s7
	s_mul_i32 s3, s3, s20
	s_mul_i32 s7, s19, s11
	s_mul_hi_u32 s3, s20, s3
	s_sub_i32 s7, s6, s7
	s_add_i32 s3, s20, s3
	s_mul_hi_u32 s11, s7, s3
	s_mul_i32 s20, s11, s10
	s_sub_i32 s7, s7, s20
	s_add_i32 s22, s11, 1
	s_sub_i32 s20, s7, s10
	s_cmp_ge_u32 s7, s10
	s_cselect_b32 s11, s22, s11
	s_cselect_b32 s7, s20, s7
	s_add_i32 s20, s11, 1
	s_mul_hi_u32 s3, s6, s3
	s_cmp_ge_u32 s7, s10
	s_mul_i32 s3, s3, s10
	s_cselect_b32 s20, s20, s11
	s_sub_i32 s3, s6, s3
	s_sub_i32 s6, s3, s10
	s_cmp_ge_u32 s3, s10
	s_cselect_b32 s3, s6, s3
	s_sub_i32 s6, s3, s10
	s_cmp_ge_u32 s3, s10
	s_cselect_b32 s3, s6, s3
	s_mul_i32 s6, s20, s21
	s_mul_i32 s21, s3, 0x78
	;; [unrolled: 1-line block ×3, first 2 shown]
	s_add_i32 s6, s3, s6
	s_mul_i32 s3, s1, s21
	s_mul_hi_u32 s7, s0, s21
	s_add_i32 s3, s7, s3
	s_lshl_b64 s[22:23], s[8:9], 3
	s_add_u32 s12, s12, s22
	s_addc_u32 s13, s13, s23
	s_load_dwordx2 s[24:25], s[12:13], 0x0
	s_load_dwordx4 s[8:11], s[4:5], 0x58
	v_mul_u32_u24_e32 v1, 0xf10, v0
	v_lshrrev_b32_e32 v4, 16, v1
	v_mul_lo_u16_e32 v1, 17, v4
	s_waitcnt lgkmcnt(0)
	s_mul_i32 s4, s25, s19
	s_mul_hi_u32 s5, s24, s19
	s_add_i32 s13, s5, s4
	s_add_u32 s4, s14, s22
	s_addc_u32 s5, s15, s23
	s_load_dwordx2 s[4:5], s[4:5], 0x0
	v_sub_u16_e32 v5, v0, v1
	s_load_dword s14, s[14:15], 0x10
	v_mad_u64_u32 v[1:2], s[26:27], s16, v5, 0
	s_mul_i32 s12, s24, s19
	s_waitcnt lgkmcnt(0)
	s_mul_i32 s5, s5, s19
	s_mul_hi_u32 s15, s4, s19
	s_add_i32 s5, s15, s5
	s_lshl_b64 s[12:13], s[12:13], 3
	s_mov_b32 s7, 0
	v_mad_u64_u32 v[2:3], s[22:23], s17, v5, v[2:3]
	s_add_u32 s12, s8, s12
	s_addc_u32 s13, s9, s13
	s_lshl_b64 s[8:9], s[6:7], 3
	s_add_u32 s6, s12, s8
	s_addc_u32 s8, s13, s9
	v_mad_u64_u32 v[6:7], s[12:13], s16, v45, 0
	v_mul_lo_u32 v16, s18, v4
	v_lshlrev_b64 v[1:2], 3, v[1:2]
	v_mov_b32_e32 v3, s8
	v_add_co_u32_e32 v9, vcc, s6, v1
	v_addc_co_u32_e32 v10, vcc, v3, v2, vcc
	v_mov_b32_e32 v3, v7
	v_lshlrev_b64 v[1:2], 3, v[16:17]
	v_mad_u64_u32 v[7:8], s[12:13], s17, v45, v[3:4]
	v_add_u16_e32 v8, 0xf0, v0
	v_add_co_u32_e32 v1, vcc, v9, v1
	v_mul_u32_u24_e32 v9, 0xf10, v8
	v_lshrrev_b32_e32 v46, 16, v9
	v_mul_lo_u16_e32 v9, 17, v46
	v_sub_u16_e32 v47, v8, v9
	v_mad_u64_u32 v[8:9], s[12:13], s16, v47, 0
	v_mul_lo_u32 v16, s18, v44
	v_lshlrev_b64 v[6:7], 3, v[6:7]
	v_addc_co_u32_e32 v2, vcc, v10, v2, vcc
	v_mov_b32_e32 v3, s8
	v_add_co_u32_e32 v11, vcc, s6, v6
	v_addc_co_u32_e32 v12, vcc, v3, v7, vcc
	v_mov_b32_e32 v3, v9
	v_lshlrev_b64 v[6:7], 3, v[16:17]
	v_mad_u64_u32 v[9:10], s[12:13], s17, v47, v[3:4]
	v_add_u16_e32 v10, 0x168, v0
	v_add_co_u32_e32 v6, vcc, v11, v6
	v_mul_u32_u24_e32 v11, 0xf10, v10
	v_lshrrev_b32_e32 v48, 16, v11
	v_mul_lo_u16_e32 v11, 17, v48
	v_sub_u16_e32 v49, v10, v11
	v_mad_u64_u32 v[10:11], s[12:13], s16, v49, 0
	v_mul_lo_u32 v16, s18, v46
	v_lshlrev_b64 v[8:9], 3, v[8:9]
	v_addc_co_u32_e32 v7, vcc, v12, v7, vcc
	v_mov_b32_e32 v3, s8
	v_add_co_u32_e32 v13, vcc, s6, v8
	v_addc_co_u32_e32 v14, vcc, v3, v9, vcc
	v_mov_b32_e32 v3, v11
	v_lshlrev_b64 v[8:9], 3, v[16:17]
	v_mad_u64_u32 v[11:12], s[12:13], s17, v49, v[3:4]
	v_add_u16_e32 v12, 0x1e0, v0
	v_add_co_u32_e32 v8, vcc, v13, v8
	v_mul_u32_u24_e32 v13, 0xf10, v12
	v_lshrrev_b32_e32 v50, 16, v13
	v_mul_lo_u16_e32 v13, 17, v50
	v_mul_lo_u32 v16, s18, v48
	v_sub_u16_e32 v51, v12, v13
	v_lshlrev_b64 v[10:11], 3, v[10:11]
	v_mad_u64_u32 v[12:13], s[12:13], s16, v51, 0
	v_addc_co_u32_e32 v9, vcc, v14, v9, vcc
	v_mov_b32_e32 v3, s8
	v_add_co_u32_e32 v15, vcc, s6, v10
	v_addc_co_u32_e32 v18, vcc, v3, v11, vcc
	v_lshlrev_b64 v[10:11], 3, v[16:17]
	v_mov_b32_e32 v3, v13
	v_mad_u64_u32 v[13:14], s[12:13], s17, v51, v[3:4]
	v_add_co_u32_e32 v10, vcc, v15, v10
	v_addc_co_u32_e32 v11, vcc, v18, v11, vcc
	global_load_dwordx2 v[14:15], v[1:2], off
	global_load_dwordx2 v[18:19], v[6:7], off
	;; [unrolled: 1-line block ×4, first 2 shown]
	v_add_u16_e32 v6, 0x258, v0
	v_mul_u32_u24_e32 v7, 0xf10, v6
	v_lshrrev_b32_e32 v52, 16, v7
	v_mul_lo_u16_e32 v7, 17, v52
	v_sub_u16_e32 v53, v6, v7
	v_mad_u64_u32 v[6:7], s[12:13], s16, v53, 0
	v_mul_lo_u32 v16, s18, v50
	v_lshlrev_b64 v[1:2], 3, v[12:13]
	v_mov_b32_e32 v3, s8
	v_add_co_u32_e32 v9, vcc, s6, v1
	v_addc_co_u32_e32 v10, vcc, v3, v2, vcc
	v_mov_b32_e32 v3, v7
	v_lshlrev_b64 v[1:2], 3, v[16:17]
	v_mad_u64_u32 v[7:8], s[12:13], s17, v53, v[3:4]
	v_add_u16_e32 v8, 0x2d0, v0
	v_add_co_u32_e32 v1, vcc, v9, v1
	v_mul_u32_u24_e32 v9, 0xf10, v8
	v_lshrrev_b32_e32 v54, 16, v9
	v_mul_lo_u16_e32 v9, 17, v54
	v_sub_u16_e32 v55, v8, v9
	v_mad_u64_u32 v[8:9], s[12:13], s16, v55, 0
	v_mul_lo_u32 v16, s18, v52
	v_lshlrev_b64 v[6:7], 3, v[6:7]
	v_addc_co_u32_e32 v2, vcc, v10, v2, vcc
	v_mov_b32_e32 v3, s8
	v_add_co_u32_e32 v11, vcc, s6, v6
	v_addc_co_u32_e32 v12, vcc, v3, v7, vcc
	v_mov_b32_e32 v3, v9
	v_lshlrev_b64 v[6:7], 3, v[16:17]
	v_mad_u64_u32 v[9:10], s[12:13], s17, v55, v[3:4]
	v_add_u16_e32 v10, 0x348, v0
	v_add_co_u32_e32 v6, vcc, v11, v6
	v_mul_u32_u24_e32 v11, 0xf10, v10
	v_lshrrev_b32_e32 v56, 16, v11
	v_mul_lo_u16_e32 v11, 17, v56
	v_sub_u16_e32 v57, v10, v11
	v_mad_u64_u32 v[10:11], s[12:13], s16, v57, 0
	v_mul_lo_u32 v16, s18, v54
	v_lshlrev_b64 v[8:9], 3, v[8:9]
	v_addc_co_u32_e32 v7, vcc, v12, v7, vcc
	v_mov_b32_e32 v3, s8
	v_add_co_u32_e32 v13, vcc, s6, v8
	v_addc_co_u32_e32 v24, vcc, v3, v9, vcc
	v_mov_b32_e32 v3, v11
	v_lshlrev_b64 v[8:9], 3, v[16:17]
	v_mad_u64_u32 v[11:12], s[12:13], s17, v57, v[3:4]
	v_add_u16_e32 v12, 0x3c0, v0
	v_add_co_u32_e32 v8, vcc, v13, v8
	v_mul_u32_u24_e32 v13, 0xf10, v12
	v_lshrrev_b32_e32 v58, 16, v13
	v_mul_lo_u16_e32 v13, 17, v58
	v_sub_u16_e32 v59, v12, v13
	v_mad_u64_u32 v[12:13], s[12:13], s16, v59, 0
	v_lshlrev_b64 v[10:11], 3, v[10:11]
	v_addc_co_u32_e32 v9, vcc, v24, v9, vcc
	v_mov_b32_e32 v3, s8
	v_add_co_u32_e32 v26, vcc, s6, v10
	v_addc_co_u32_e32 v27, vcc, v3, v11, vcc
	v_mov_b32_e32 v3, v13
	v_mad_u64_u32 v[24:25], s[12:13], s17, v59, v[3:4]
	v_mul_lo_u32 v16, s18, v56
	v_mov_b32_e32 v3, s8
	v_mov_b32_e32 v13, v24
	v_add_u16_e32 v24, 0x438, v0
	v_mul_u32_u24_e32 v25, 0xf10, v24
	v_lshrrev_b32_e32 v60, 16, v25
	v_mul_lo_u16_e32 v25, 17, v60
	v_lshlrev_b64 v[10:11], 3, v[16:17]
	v_sub_u16_e32 v61, v24, v25
	v_mad_u64_u32 v[24:25], s[12:13], s16, v61, 0
	v_add_co_u32_e32 v10, vcc, v26, v10
	v_mul_lo_u32 v16, s18, v58
	v_lshlrev_b64 v[12:13], 3, v[12:13]
	v_addc_co_u32_e32 v11, vcc, v27, v11, vcc
	v_add_co_u32_e32 v27, vcc, s6, v12
	v_addc_co_u32_e32 v28, vcc, v3, v13, vcc
	v_mov_b32_e32 v3, v25
	v_lshlrev_b64 v[12:13], 3, v[16:17]
	v_mad_u64_u32 v[25:26], s[12:13], s17, v61, v[3:4]
	v_add_u16_e32 v26, 0x4b0, v0
	v_add_co_u32_e32 v12, vcc, v27, v12
	v_mul_u32_u24_e32 v27, 0xf10, v26
	v_lshrrev_b32_e32 v62, 16, v27
	v_mul_lo_u16_e32 v27, 17, v62
	v_sub_u16_e32 v63, v26, v27
	v_mad_u64_u32 v[26:27], s[12:13], s16, v63, 0
	v_mul_lo_u32 v16, s18, v60
	v_lshlrev_b64 v[24:25], 3, v[24:25]
	v_addc_co_u32_e32 v13, vcc, v28, v13, vcc
	v_mov_b32_e32 v3, s8
	v_add_co_u32_e32 v29, vcc, s6, v24
	v_addc_co_u32_e32 v30, vcc, v3, v25, vcc
	v_mov_b32_e32 v3, v27
	v_lshlrev_b64 v[24:25], 3, v[16:17]
	v_mad_u64_u32 v[27:28], s[12:13], s17, v63, v[3:4]
	v_add_u16_e32 v28, 0x528, v0
	v_add_co_u32_e32 v24, vcc, v29, v24
	v_mul_u32_u24_e32 v29, 0xf10, v28
	v_lshrrev_b32_e32 v64, 16, v29
	v_mul_lo_u16_e32 v29, 17, v64
	v_sub_u16_e32 v65, v28, v29
	v_mad_u64_u32 v[28:29], s[12:13], s16, v65, 0
	v_mul_lo_u32 v16, s18, v62
	v_lshlrev_b64 v[26:27], 3, v[26:27]
	v_addc_co_u32_e32 v25, vcc, v30, v25, vcc
	v_mov_b32_e32 v3, s8
	;; [unrolled: 16-line block ×5, first 2 shown]
	v_add_co_u32_e32 v37, vcc, s6, v32
	v_addc_co_u32_e32 v38, vcc, v3, v33, vcc
	v_mov_b32_e32 v3, v35
	v_lshlrev_b64 v[32:33], 3, v[16:17]
	v_mad_u64_u32 v[35:36], s[12:13], s17, v71, v[3:4]
	v_add_u16_e32 v36, 0x708, v0
	v_add_co_u32_e32 v32, vcc, v37, v32
	v_mul_u32_u24_e32 v37, 0xf10, v36
	v_lshrrev_b32_e32 v72, 16, v37
	v_mul_lo_u16_e32 v37, 17, v72
	v_sub_u16_e32 v73, v36, v37
	v_mad_u64_u32 v[36:37], s[12:13], s16, v73, 0
	v_mul_lo_u32 v16, s18, v70
	v_lshlrev_b64 v[34:35], 3, v[34:35]
	global_load_dwordx2 v[1:2], v[1:2], off
	v_addc_co_u32_e32 v33, vcc, v38, v33, vcc
	global_load_dwordx2 v[6:7], v[6:7], off
	v_mov_b32_e32 v3, s8
	global_load_dwordx2 v[8:9], v[8:9], off
	v_add_co_u32_e32 v39, vcc, s6, v34
	global_load_dwordx2 v[10:11], v[10:11], off
	v_addc_co_u32_e32 v40, vcc, v3, v35, vcc
	v_mov_b32_e32 v3, v37
	v_lshlrev_b64 v[34:35], 3, v[16:17]
	v_mad_u64_u32 v[37:38], s[12:13], s17, v73, v[3:4]
	s_movk_i32 s9, 0xf10
	v_or_b32_e32 v38, 0x780, v0
	v_add_co_u32_e32 v34, vcc, v39, v34
	v_mul_u32_u24_sdwa v39, v38, s9 dst_sel:DWORD dst_unused:UNUSED_PAD src0_sel:WORD_0 src1_sel:DWORD
	v_lshrrev_b32_e32 v74, 16, v39
	v_mul_lo_u16_e32 v39, 17, v74
	v_sub_u16_e32 v75, v38, v39
	global_load_dwordx2 v[12:13], v[12:13], off
	v_mad_u64_u32 v[38:39], s[12:13], s16, v75, 0
	global_load_dwordx2 v[24:25], v[24:25], off
	v_lshlrev_b64 v[36:37], 3, v[36:37]
	global_load_dwordx2 v[26:27], v[26:27], off
	v_addc_co_u32_e32 v35, vcc, v40, v35, vcc
	global_load_dwordx2 v[28:29], v[28:29], off
	v_mul_lo_u32 v16, s18, v72
	v_mov_b32_e32 v3, s8
	v_add_co_u32_e32 v41, vcc, s6, v36
	v_addc_co_u32_e32 v42, vcc, v3, v37, vcc
	v_mov_b32_e32 v3, v39
	v_mad_u64_u32 v[39:40], s[12:13], s17, v75, v[3:4]
	v_lshlrev_b64 v[36:37], 3, v[16:17]
	global_load_dwordx2 v[30:31], v[30:31], off
	v_mul_lo_u32 v16, s18, v74
	v_add_co_u32_e32 v36, vcc, v41, v36
	v_lshlrev_b64 v[38:39], 3, v[38:39]
	v_addc_co_u32_e32 v37, vcc, v42, v37, vcc
	global_load_dwordx2 v[40:41], v[32:33], off
	global_load_dwordx2 v[42:43], v[34:35], off
	v_mov_b32_e32 v3, s8
	v_add_co_u32_e32 v38, vcc, s6, v38
	v_lshlrev_b64 v[32:33], 3, v[16:17]
	v_addc_co_u32_e32 v3, vcc, v3, v39, vcc
	global_load_dwordx2 v[34:35], v[36:37], off
	v_add_co_u32_e32 v32, vcc, v38, v32
	v_addc_co_u32_e32 v33, vcc, v3, v33, vcc
	global_load_dwordx2 v[32:33], v[32:33], off
	v_mul_u32_u24_e32 v3, 0x90, v4
	v_lshlrev_b32_e32 v4, 3, v5
	v_add3_u32 v3, 0, v3, v4
	s_waitcnt vmcnt(16)
	ds_write_b64 v3, v[14:15]
	v_mul_u32_u24_e32 v3, 0x90, v44
	v_lshlrev_b32_e32 v4, 3, v45
	v_add3_u32 v3, 0, v3, v4
	s_waitcnt vmcnt(15)
	ds_write_b64 v3, v[18:19]
	;; [unrolled: 5-line block ×8, first 2 shown]
	v_mul_u32_u24_e32 v2, 0x90, v58
	v_lshlrev_b32_e32 v3, 3, v59
	v_add3_u32 v2, 0, v2, v3
	v_lshlrev_b32_e32 v3, 3, v61
	s_mov_b32 s6, 0x88888889
	v_add_u32_e32 v4, s21, v0
	v_mul_hi_u32 v5, v4, s6
	s_movk_i32 s8, 0x78
	s_movk_i32 s6, 0x90
	s_waitcnt vmcnt(8)
	ds_write_b64 v2, v[12:13]
	v_mul_u32_u24_e32 v2, 0x90, v60
	v_add3_u32 v2, 0, v2, v3
	s_waitcnt vmcnt(7)
	ds_write_b64 v2, v[24:25]
	v_mul_u32_u24_e32 v2, 0x90, v62
	v_lshlrev_b32_e32 v3, 3, v63
	v_add3_u32 v2, 0, v2, v3
	s_waitcnt vmcnt(6)
	ds_write_b64 v2, v[26:27]
	v_mul_u32_u24_e32 v2, 0x90, v64
	v_lshlrev_b32_e32 v3, 3, v65
	;; [unrolled: 5-line block ×3, first 2 shown]
	v_add3_u32 v2, 0, v2, v3
	v_lshlrev_b32_e32 v3, 3, v69
	v_lshrrev_b32_e32 v5, 6, v5
	v_mul_lo_u32 v5, v5, s8
	s_mov_b32 s12, 0x3f6eb680
	s_waitcnt vmcnt(4)
	ds_write_b64 v2, v[30:31]
	v_mul_u32_u24_e32 v2, 0x90, v68
	v_add3_u32 v2, 0, v2, v3
	v_lshlrev_b32_e32 v3, 3, v71
	v_sub_u32_e32 v1, v4, v5
	v_mad_u32_u24 v26, v1, s6, 0
	s_waitcnt vmcnt(3)
	ds_write_b64 v2, v[40:41]
	v_mul_u32_u24_e32 v2, 0x90, v70
	v_add3_u32 v2, 0, v2, v3
	s_waitcnt vmcnt(2)
	ds_write_b64 v2, v[42:43]
	v_mul_u32_u24_e32 v2, 0x90, v72
	v_lshlrev_b32_e32 v3, 3, v73
	v_add3_u32 v2, 0, v2, v3
	v_lshlrev_b32_e32 v3, 3, v75
	s_waitcnt vmcnt(1)
	ds_write_b64 v2, v[34:35]
	v_mul_u32_u24_e32 v2, 0x90, v74
	v_add3_u32 v2, 0, v2, v3
	s_mov_b32 s9, 0x3f3d2fb0
	s_mov_b32 s16, 0x3ee437d1
	s_waitcnt vmcnt(0)
	ds_write_b64 v2, v[32:33]
	s_waitcnt lgkmcnt(0)
	s_barrier
	ds_read2_b64 v[13:16], v26 offset1:1
	ds_read2_b64 v[20:23], v26 offset0:2 offset1:3
	ds_read2_b64 v[27:30], v26 offset0:4 offset1:5
	;; [unrolled: 1-line block ×7, first 2 shown]
	ds_read_b64 v[18:19], v26 offset:128
	s_waitcnt lgkmcnt(8)
	v_add_f32_e32 v24, v13, v15
	v_add_f32_e32 v25, v14, v16
	s_waitcnt lgkmcnt(7)
	v_add_f32_e32 v24, v24, v20
	v_add_f32_e32 v25, v25, v21
	v_add_f32_e32 v24, v24, v22
	v_add_f32_e32 v25, v25, v23
	s_waitcnt lgkmcnt(6)
	v_add_f32_e32 v24, v24, v27
	v_add_f32_e32 v25, v25, v28
	v_add_f32_e32 v24, v24, v29
	v_add_f32_e32 v25, v25, v30
	s_waitcnt lgkmcnt(5)
	v_add_f32_e32 v24, v24, v5
	v_add_f32_e32 v25, v25, v6
	v_add_f32_e32 v24, v24, v7
	v_add_f32_e32 v25, v25, v8
	s_waitcnt lgkmcnt(4)
	v_add_f32_e32 v24, v24, v1
	v_add_f32_e32 v25, v25, v2
	v_add_f32_e32 v24, v24, v3
	v_add_f32_e32 v25, v25, v4
	s_waitcnt lgkmcnt(3)
	v_add_f32_e32 v24, v24, v9
	v_add_f32_e32 v25, v25, v10
	v_add_f32_e32 v24, v24, v11
	v_add_f32_e32 v25, v25, v12
	s_waitcnt lgkmcnt(2)
	v_add_f32_e32 v24, v24, v31
	v_add_f32_e32 v25, v25, v32
	v_add_f32_e32 v24, v24, v33
	v_add_f32_e32 v25, v25, v34
	s_waitcnt lgkmcnt(1)
	v_add_f32_e32 v24, v24, v35
	s_waitcnt lgkmcnt(0)
	v_sub_f32_e32 v40, v16, v19
	v_add_f32_e32 v25, v25, v36
	v_add_f32_e32 v24, v24, v37
	v_mul_f32_e32 v41, 0xbeb8f4ab, v40
	v_mul_f32_e32 v43, 0xbf2c7751, v40
	v_add_f32_e32 v45, v37, v20
	v_sub_f32_e32 v20, v20, v37
	v_add_f32_e32 v37, v35, v22
	v_sub_f32_e32 v22, v22, v35
	;; [unrolled: 2-line block ×4, first 2 shown]
	v_mul_f32_e32 v29, 0xbf65296c, v40
	v_mul_f32_e32 v31, 0xbf7ee86f, v40
	;; [unrolled: 1-line block ×6, first 2 shown]
	v_add_f32_e32 v25, v25, v38
	v_add_f32_e32 v39, v18, v15
	v_mov_b32_e32 v42, v41
	v_mov_b32_e32 v44, v43
	v_add_f32_e32 v46, v38, v21
	v_sub_f32_e32 v21, v21, v38
	v_add_f32_e32 v38, v36, v23
	v_sub_f32_e32 v23, v23, v36
	;; [unrolled: 2-line block ×4, first 2 shown]
	v_mov_b32_e32 v30, v29
	s_mov_b32 s13, 0x3dbcf732
	v_mov_b32_e32 v32, v31
	s_mov_b32 s15, 0xbe8c1d8e
	;; [unrolled: 2-line block ×5, first 2 shown]
	v_mov_b32_e32 v55, v40
	v_add_f32_e32 v16, v19, v16
	v_fmac_f32_e32 v42, 0x3f6eb680, v39
	v_fma_f32 v41, v39, s12, -v41
	v_fmac_f32_e32 v44, 0x3f3d2fb0, v39
	v_fma_f32 v43, v39, s9, -v43
	;; [unrolled: 2-line block ×8, first 2 shown]
	v_mul_f32_e32 v40, 0x3f6eb680, v16
	v_mul_f32_e32 v57, 0x3f3d2fb0, v16
	;; [unrolled: 1-line block ×8, first 2 shown]
	v_sub_f32_e32 v15, v15, v18
	v_mov_b32_e32 v56, v40
	v_mov_b32_e32 v58, v57
	;; [unrolled: 1-line block ×8, first 2 shown]
	v_fmac_f32_e32 v56, 0x3eb8f4ab, v15
	v_fmac_f32_e32 v40, 0xbeb8f4ab, v15
	v_fmac_f32_e32 v58, 0x3f2c7751, v15
	v_fmac_f32_e32 v57, 0xbf2c7751, v15
	v_fmac_f32_e32 v60, 0x3f65296c, v15
	v_fmac_f32_e32 v59, 0xbf65296c, v15
	v_fmac_f32_e32 v62, 0x3f7ee86f, v15
	v_fmac_f32_e32 v61, 0xbf7ee86f, v15
	v_fmac_f32_e32 v64, 0x3f763a35, v15
	v_fmac_f32_e32 v63, 0xbf763a35, v15
	v_fmac_f32_e32 v66, 0x3f4c4adb, v15
	v_fmac_f32_e32 v65, 0xbf4c4adb, v15
	v_fmac_f32_e32 v68, 0x3f06c442, v15
	v_fmac_f32_e32 v67, 0xbf06c442, v15
	v_fmac_f32_e32 v69, 0x3e3c28d5, v15
	v_fmac_f32_e32 v16, 0xbe3c28d5, v15
	v_add_f32_e32 v15, v13, v42
	v_add_f32_e32 v41, v13, v41
	;; [unrolled: 1-line block ×17, first 2 shown]
	v_mul_f32_e32 v18, 0xbf2c7751, v21
	v_add_f32_e32 v42, v14, v56
	v_add_f32_e32 v40, v14, v40
	;; [unrolled: 1-line block ×17, first 2 shown]
	v_mov_b32_e32 v19, v18
	v_fmac_f32_e32 v19, 0x3f3d2fb0, v45
	v_add_f32_e32 v15, v19, v15
	v_mul_f32_e32 v19, 0x3f3d2fb0, v46
	v_mov_b32_e32 v24, v19
	v_fmac_f32_e32 v19, 0xbf2c7751, v20
	v_mul_f32_e32 v25, 0xbf7ee86f, v21
	v_add_f32_e32 v19, v19, v40
	v_mov_b32_e32 v40, v25
	v_fma_f32 v25, v45, s13, -v25
	v_fma_f32 v18, v45, s9, -v18
	v_fmac_f32_e32 v40, 0x3dbcf732, v45
	v_add_f32_e32 v25, v25, v43
	v_mul_f32_e32 v43, 0xbf4c4adb, v21
	v_fmac_f32_e32 v24, 0x3f2c7751, v20
	v_add_f32_e32 v18, v18, v41
	v_add_f32_e32 v40, v40, v44
	v_mul_f32_e32 v41, 0x3dbcf732, v46
	v_mov_b32_e32 v44, v43
	v_add_f32_e32 v24, v24, v42
	v_mov_b32_e32 v42, v41
	v_fmac_f32_e32 v44, 0xbf1a4643, v45
	v_fmac_f32_e32 v42, 0x3f7ee86f, v20
	v_add_f32_e32 v30, v44, v30
	v_mul_f32_e32 v44, 0xbf1a4643, v46
	v_add_f32_e32 v42, v42, v56
	v_mov_b32_e32 v56, v44
	v_fma_f32 v43, v45, s17, -v43
	v_fmac_f32_e32 v44, 0xbf4c4adb, v20
	v_fmac_f32_e32 v41, 0xbf7ee86f, v20
	v_add_f32_e32 v29, v43, v29
	v_add_f32_e32 v43, v44, v59
	v_mul_f32_e32 v44, 0xbe3c28d5, v21
	v_add_f32_e32 v41, v41, v57
	v_mov_b32_e32 v57, v44
	v_fmac_f32_e32 v57, 0xbf7ba420, v45
	v_fmac_f32_e32 v56, 0x3f4c4adb, v20
	v_add_f32_e32 v32, v57, v32
	v_mul_f32_e32 v57, 0xbf7ba420, v46
	v_add_f32_e32 v56, v56, v58
	v_mov_b32_e32 v58, v57
	v_fma_f32 v44, v45, s22, -v44
	v_fmac_f32_e32 v57, 0xbe3c28d5, v20
	v_add_f32_e32 v31, v44, v31
	v_add_f32_e32 v44, v57, v61
	v_mul_f32_e32 v57, 0x3f06c442, v21
	v_mov_b32_e32 v59, v57
	v_fmac_f32_e32 v59, 0xbf59a7d5, v45
	v_fmac_f32_e32 v58, 0x3e3c28d5, v20
	v_add_f32_e32 v34, v59, v34
	v_mul_f32_e32 v59, 0xbf59a7d5, v46
	v_add_f32_e32 v58, v58, v60
	v_mov_b32_e32 v60, v59
	v_fma_f32 v57, v45, s18, -v57
	v_fmac_f32_e32 v59, 0x3f06c442, v20
	v_add_f32_e32 v33, v57, v33
	v_add_f32_e32 v57, v59, v63
	v_mul_f32_e32 v59, 0x3f763a35, v21
	v_mov_b32_e32 v61, v59
	v_fmac_f32_e32 v61, 0xbe8c1d8e, v45
	v_fmac_f32_e32 v60, 0xbf06c442, v20
	v_add_f32_e32 v52, v61, v52
	v_mul_f32_e32 v61, 0xbe8c1d8e, v46
	v_add_f32_e32 v60, v60, v62
	v_mov_b32_e32 v62, v61
	v_fma_f32 v59, v45, s15, -v59
	v_fmac_f32_e32 v61, 0x3f763a35, v20
	v_add_f32_e32 v48, v59, v48
	v_add_f32_e32 v59, v61, v65
	v_mul_f32_e32 v61, 0x3f65296c, v21
	v_mov_b32_e32 v63, v61
	v_fmac_f32_e32 v63, 0x3ee437d1, v45
	v_fmac_f32_e32 v62, 0xbf763a35, v20
	v_add_f32_e32 v54, v63, v54
	v_mul_f32_e32 v63, 0x3ee437d1, v46
	v_add_f32_e32 v62, v62, v64
	v_mov_b32_e32 v64, v63
	v_fma_f32 v61, v45, s16, -v61
	v_fmac_f32_e32 v63, 0x3f65296c, v20
	v_mul_f32_e32 v21, 0x3eb8f4ab, v21
	v_add_f32_e32 v53, v61, v53
	v_add_f32_e32 v61, v63, v67
	v_mov_b32_e32 v63, v21
	v_fmac_f32_e32 v63, 0x3f6eb680, v45
	v_mul_f32_e32 v46, 0x3f6eb680, v46
	v_add_f32_e32 v55, v63, v55
	v_mov_b32_e32 v63, v46
	v_fmac_f32_e32 v64, 0xbf65296c, v20
	v_fmac_f32_e32 v63, 0xbeb8f4ab, v20
	v_fma_f32 v21, v45, s12, -v21
	v_fmac_f32_e32 v46, 0x3eb8f4ab, v20
	v_mul_f32_e32 v20, 0xbf65296c, v23
	v_add_f32_e32 v21, v21, v39
	v_mov_b32_e32 v39, v20
	v_fmac_f32_e32 v39, 0x3ee437d1, v37
	v_add_f32_e32 v15, v39, v15
	v_mul_f32_e32 v39, 0x3ee437d1, v38
	v_fma_f32 v20, v37, s16, -v20
	v_mov_b32_e32 v45, v39
	v_add_f32_e32 v18, v20, v18
	v_fmac_f32_e32 v39, 0xbf65296c, v22
	v_mul_f32_e32 v20, 0xbf4c4adb, v23
	v_add_f32_e32 v19, v39, v19
	v_mov_b32_e32 v39, v20
	v_fmac_f32_e32 v39, 0xbf1a4643, v37
	v_fmac_f32_e32 v45, 0x3f65296c, v22
	v_add_f32_e32 v39, v39, v40
	v_mul_f32_e32 v40, 0xbf1a4643, v38
	v_add_f32_e32 v24, v45, v24
	v_mov_b32_e32 v45, v40
	v_fma_f32 v20, v37, s17, -v20
	v_fmac_f32_e32 v40, 0xbf4c4adb, v22
	v_add_f32_e32 v20, v20, v25
	v_add_f32_e32 v25, v40, v41
	v_mul_f32_e32 v40, 0x3e3c28d5, v23
	v_mov_b32_e32 v41, v40
	v_fmac_f32_e32 v41, 0xbf7ba420, v37
	v_fmac_f32_e32 v45, 0x3f4c4adb, v22
	v_add_f32_e32 v30, v41, v30
	v_mul_f32_e32 v41, 0xbf7ba420, v38
	v_add_f32_e32 v42, v45, v42
	v_mov_b32_e32 v45, v41
	v_fma_f32 v40, v37, s22, -v40
	v_fmac_f32_e32 v41, 0x3e3c28d5, v22
	v_add_f32_e32 v29, v40, v29
	v_add_f32_e32 v40, v41, v43
	v_mul_f32_e32 v41, 0x3f763a35, v23
	v_mov_b32_e32 v43, v41
	v_fmac_f32_e32 v43, 0xbe8c1d8e, v37
	v_add_f32_e32 v32, v43, v32
	v_mul_f32_e32 v43, 0xbe8c1d8e, v38
	v_add_f32_e32 v16, v46, v16
	v_mov_b32_e32 v46, v43
	v_fma_f32 v41, v37, s15, -v41
	v_fmac_f32_e32 v43, 0x3f763a35, v22
	v_add_f32_e32 v31, v41, v31
	v_add_f32_e32 v41, v43, v44
	v_mul_f32_e32 v43, 0x3f2c7751, v23
	v_mov_b32_e32 v44, v43
	v_fmac_f32_e32 v44, 0x3f3d2fb0, v37
	v_fmac_f32_e32 v45, 0xbe3c28d5, v22
	v_add_f32_e32 v34, v44, v34
	v_mul_f32_e32 v44, 0x3f3d2fb0, v38
	v_add_f32_e32 v45, v45, v56
	v_mov_b32_e32 v56, v44
	v_fma_f32 v43, v37, s9, -v43
	v_fmac_f32_e32 v44, 0x3f2c7751, v22
	v_add_f32_e32 v33, v43, v33
	v_add_f32_e32 v43, v44, v57
	v_mul_f32_e32 v44, 0xbeb8f4ab, v23
	v_mov_b32_e32 v57, v44
	v_fmac_f32_e32 v57, 0x3f6eb680, v37
	;; [unrolled: 12-line block ×3, first 2 shown]
	v_fmac_f32_e32 v56, 0xbf2c7751, v22
	v_add_f32_e32 v54, v59, v54
	v_mul_f32_e32 v59, 0x3dbcf732, v38
	v_add_f32_e32 v56, v56, v60
	v_mov_b32_e32 v60, v59
	v_fma_f32 v57, v37, s13, -v57
	v_fmac_f32_e32 v59, 0xbf7ee86f, v22
	v_mul_f32_e32 v23, 0xbf06c442, v23
	v_add_f32_e32 v53, v57, v53
	v_add_f32_e32 v57, v59, v61
	v_mov_b32_e32 v59, v23
	v_fmac_f32_e32 v59, 0xbf59a7d5, v37
	v_mul_f32_e32 v38, 0xbf59a7d5, v38
	v_add_f32_e32 v55, v59, v55
	v_mov_b32_e32 v59, v38
	v_fmac_f32_e32 v58, 0x3eb8f4ab, v22
	v_fmac_f32_e32 v60, 0x3f7ee86f, v22
	;; [unrolled: 1-line block ×3, first 2 shown]
	v_fma_f32 v23, v37, s18, -v23
	v_fmac_f32_e32 v38, 0xbf06c442, v22
	v_mul_f32_e32 v22, 0xbf7ee86f, v28
	v_add_f32_e32 v21, v23, v21
	v_mov_b32_e32 v23, v22
	v_fmac_f32_e32 v23, 0x3dbcf732, v35
	v_add_f32_e32 v15, v23, v15
	v_mul_f32_e32 v23, 0x3dbcf732, v36
	v_fma_f32 v22, v35, s13, -v22
	v_mov_b32_e32 v37, v23
	v_add_f32_e32 v22, v22, v18
	v_fmac_f32_e32 v23, 0xbf7ee86f, v27
	v_mul_f32_e32 v18, 0xbe3c28d5, v28
	v_add_f32_e32 v23, v23, v19
	v_mov_b32_e32 v19, v18
	v_fmac_f32_e32 v37, 0x3f7ee86f, v27
	v_fmac_f32_e32 v19, 0xbf7ba420, v35
	v_add_f32_e32 v24, v37, v24
	v_add_f32_e32 v37, v19, v39
	v_mul_f32_e32 v19, 0xbf7ba420, v36
	v_fma_f32 v18, v35, s22, -v18
	v_add_f32_e32 v16, v38, v16
	v_mov_b32_e32 v38, v19
	v_add_f32_e32 v39, v18, v20
	v_fmac_f32_e32 v19, 0xbe3c28d5, v27
	v_mul_f32_e32 v18, 0x3f763a35, v28
	v_add_f32_e32 v25, v19, v25
	v_mov_b32_e32 v19, v18
	v_fmac_f32_e32 v19, 0xbe8c1d8e, v35
	v_add_f32_e32 v30, v19, v30
	v_mul_f32_e32 v19, 0xbe8c1d8e, v36
	v_fma_f32 v18, v35, s15, -v18
	v_mov_b32_e32 v20, v19
	v_add_f32_e32 v29, v18, v29
	v_fmac_f32_e32 v19, 0x3f763a35, v27
	v_mul_f32_e32 v18, 0x3eb8f4ab, v28
	v_add_f32_e32 v40, v19, v40
	v_mov_b32_e32 v19, v18
	v_fmac_f32_e32 v19, 0x3f6eb680, v35
	v_fmac_f32_e32 v38, 0x3e3c28d5, v27
	;; [unrolled: 1-line block ×3, first 2 shown]
	v_add_f32_e32 v32, v19, v32
	v_mul_f32_e32 v19, 0x3f6eb680, v36
	v_add_f32_e32 v38, v38, v42
	v_add_f32_e32 v42, v20, v45
	v_mov_b32_e32 v20, v19
	v_fmac_f32_e32 v20, 0xbeb8f4ab, v27
	v_fma_f32 v18, v35, s12, -v18
	v_add_f32_e32 v45, v20, v46
	v_add_f32_e32 v46, v18, v31
	v_fmac_f32_e32 v19, 0x3eb8f4ab, v27
	v_mul_f32_e32 v18, 0xbf65296c, v28
	v_add_f32_e32 v41, v19, v41
	v_mov_b32_e32 v19, v18
	v_fmac_f32_e32 v19, 0x3ee437d1, v35
	v_add_f32_e32 v34, v19, v34
	v_mul_f32_e32 v19, 0x3ee437d1, v36
	v_fma_f32 v18, v35, s16, -v18
	v_mov_b32_e32 v20, v19
	v_add_f32_e32 v61, v18, v33
	v_fmac_f32_e32 v19, 0xbf65296c, v27
	v_mul_f32_e32 v18, 0xbf06c442, v28
	v_add_f32_e32 v43, v19, v43
	v_mov_b32_e32 v19, v18
	v_fmac_f32_e32 v19, 0xbf59a7d5, v35
	v_fmac_f32_e32 v20, 0x3f65296c, v27
	v_add_f32_e32 v52, v19, v52
	v_mul_f32_e32 v19, 0xbf59a7d5, v36
	v_fma_f32 v18, v35, s18, -v18
	v_add_f32_e32 v56, v20, v56
	v_mov_b32_e32 v20, v19
	v_add_f32_e32 v44, v18, v44
	v_fmac_f32_e32 v19, 0xbf06c442, v27
	v_mul_f32_e32 v18, 0x3f4c4adb, v28
	v_add_f32_e32 v58, v58, v62
	v_add_f32_e32 v62, v19, v48
	v_mov_b32_e32 v19, v18
	v_fmac_f32_e32 v19, 0xbf1a4643, v35
	v_fmac_f32_e32 v20, 0x3f06c442, v27
	v_add_f32_e32 v54, v19, v54
	v_mul_f32_e32 v19, 0xbf1a4643, v36
	v_fma_f32 v18, v35, s17, -v18
	v_add_f32_e32 v58, v20, v58
	v_mov_b32_e32 v20, v19
	v_add_f32_e32 v53, v18, v53
	v_fmac_f32_e32 v19, 0x3f4c4adb, v27
	v_mul_f32_e32 v18, 0x3f2c7751, v28
	v_add_f32_e32 v57, v19, v57
	v_mov_b32_e32 v19, v18
	v_add_f32_e32 v64, v64, v66
	v_fmac_f32_e32 v19, 0x3f3d2fb0, v35
	v_add_f32_e32 v60, v60, v64
	v_fmac_f32_e32 v20, 0xbf4c4adb, v27
	v_add_f32_e32 v55, v19, v55
	v_mul_f32_e32 v19, 0x3f3d2fb0, v36
	v_add_f32_e32 v60, v20, v60
	v_mov_b32_e32 v20, v19
	v_fmac_f32_e32 v19, 0x3f2c7751, v27
	v_add_f32_e32 v63, v63, v68
	v_fma_f32 v18, v35, s9, -v18
	v_add_f32_e32 v16, v19, v16
	v_mul_f32_e32 v19, 0xbf763a35, v51
	v_add_f32_e32 v59, v59, v63
	v_add_f32_e32 v63, v18, v21
	v_mov_b32_e32 v18, v19
	v_fmac_f32_e32 v18, 0xbe8c1d8e, v49
	v_add_f32_e32 v48, v18, v15
	v_mul_f32_e32 v15, 0xbe8c1d8e, v47
	v_fmac_f32_e32 v20, 0xbf2c7751, v27
	v_mov_b32_e32 v18, v15
	v_fmac_f32_e32 v15, 0xbf763a35, v50
	v_add_f32_e32 v59, v20, v59
	v_fmac_f32_e32 v18, 0x3f763a35, v50
	v_add_f32_e32 v20, v15, v23
	v_mul_f32_e32 v15, 0x3f06c442, v51
	v_add_f32_e32 v18, v18, v24
	v_fma_f32 v19, v49, s15, -v19
	v_mov_b32_e32 v21, v15
	v_mul_f32_e32 v24, 0xbf59a7d5, v47
	v_fma_f32 v15, v49, s18, -v15
	v_add_f32_e32 v19, v19, v22
	v_mov_b32_e32 v22, v24
	v_add_f32_e32 v23, v15, v39
	v_fmac_f32_e32 v24, 0x3f06c442, v50
	v_mul_f32_e32 v15, 0x3f2c7751, v51
	v_add_f32_e32 v24, v24, v25
	v_mov_b32_e32 v25, v15
	v_fmac_f32_e32 v25, 0x3f3d2fb0, v49
	v_add_f32_e32 v25, v25, v30
	v_mul_f32_e32 v30, 0x3f3d2fb0, v47
	v_fma_f32 v15, v49, s9, -v15
	v_mov_b32_e32 v27, v30
	v_add_f32_e32 v28, v15, v29
	v_fmac_f32_e32 v30, 0x3f2c7751, v50
	v_mul_f32_e32 v15, 0xbf65296c, v51
	v_add_f32_e32 v29, v30, v40
	v_mov_b32_e32 v30, v15
	v_fmac_f32_e32 v30, 0x3ee437d1, v49
	v_fma_f32 v15, v49, s16, -v15
	v_add_f32_e32 v30, v30, v32
	v_add_f32_e32 v32, v15, v46
	v_mul_f32_e32 v15, 0xbe3c28d5, v51
	v_mov_b32_e32 v35, v15
	v_fma_f32 v15, v49, s22, -v15
	v_fmac_f32_e32 v22, 0xbf06c442, v50
	v_add_f32_e32 v36, v15, v61
	v_mul_f32_e32 v15, 0x3f7ee86f, v51
	v_add_f32_e32 v22, v22, v38
	v_mul_f32_e32 v33, 0x3ee437d1, v47
	v_mov_b32_e32 v38, v15
	v_fma_f32 v15, v49, s13, -v15
	v_fmac_f32_e32 v21, 0xbf59a7d5, v49
	v_fmac_f32_e32 v27, 0xbf2c7751, v50
	v_mov_b32_e32 v31, v33
	v_add_f32_e32 v40, v15, v44
	v_mul_f32_e32 v15, 0xbeb8f4ab, v51
	v_add_f32_e32 v21, v21, v37
	v_add_f32_e32 v27, v27, v42
	v_fmac_f32_e32 v31, 0x3f65296c, v50
	v_fmac_f32_e32 v33, 0xbf65296c, v50
	;; [unrolled: 1-line block ×3, first 2 shown]
	v_mul_f32_e32 v37, 0xbf7ba420, v47
	v_mov_b32_e32 v42, v15
	v_fma_f32 v15, v49, s12, -v15
	v_add_f32_e32 v31, v31, v45
	v_add_f32_e32 v33, v33, v41
	;; [unrolled: 1-line block ×3, first 2 shown]
	v_mov_b32_e32 v35, v37
	v_fmac_f32_e32 v37, 0xbe3c28d5, v50
	v_mul_f32_e32 v41, 0x3dbcf732, v47
	v_mul_f32_e32 v45, 0x3f6eb680, v47
	v_add_f32_e32 v44, v15, v53
	v_mul_f32_e32 v15, 0xbf4c4adb, v51
	v_mul_f32_e32 v51, 0xbf1a4643, v47
	v_add_f32_e32 v37, v37, v43
	v_mov_b32_e32 v39, v41
	v_mov_b32_e32 v43, v45
	;; [unrolled: 1-line block ×3, first 2 shown]
	v_fmac_f32_e32 v35, 0x3e3c28d5, v50
	v_fmac_f32_e32 v39, 0xbf7ee86f, v50
	;; [unrolled: 1-line block ×5, first 2 shown]
	v_mov_b32_e32 v46, v15
	v_fmac_f32_e32 v47, 0x3f4c4adb, v50
	v_fmac_f32_e32 v51, 0xbf4c4adb, v50
	v_sub_f32_e32 v50, v6, v12
	v_add_f32_e32 v6, v12, v6
	v_fmac_f32_e32 v38, 0x3dbcf732, v49
	v_fmac_f32_e32 v42, 0x3f6eb680, v49
	;; [unrolled: 1-line block ×3, first 2 shown]
	v_fma_f32 v15, v49, s17, -v15
	v_add_f32_e32 v49, v11, v5
	v_sub_f32_e32 v5, v5, v11
	v_mul_f32_e32 v11, 0xbf1a4643, v6
	v_mov_b32_e32 v12, v11
	v_add_f32_e32 v16, v51, v16
	v_mul_f32_e32 v51, 0xbf4c4adb, v50
	v_fmac_f32_e32 v12, 0x3f4c4adb, v5
	v_add_f32_e32 v12, v12, v18
	v_fma_f32 v18, v49, s17, -v51
	v_add_f32_e32 v18, v18, v19
	v_fmac_f32_e32 v11, 0xbf4c4adb, v5
	v_mul_f32_e32 v19, 0x3f763a35, v50
	v_add_f32_e32 v11, v11, v20
	v_mov_b32_e32 v20, v19
	v_fmac_f32_e32 v20, 0xbe8c1d8e, v49
	v_add_f32_e32 v20, v20, v21
	v_mul_f32_e32 v21, 0xbe8c1d8e, v6
	v_fma_f32 v19, v49, s15, -v19
	v_add_f32_e32 v38, v38, v52
	v_mov_b32_e32 v52, v51
	v_mov_b32_e32 v51, v21
	v_add_f32_e32 v19, v19, v23
	v_fmac_f32_e32 v21, 0x3f763a35, v5
	v_mul_f32_e32 v23, 0xbeb8f4ab, v50
	v_add_f32_e32 v21, v21, v24
	v_mov_b32_e32 v24, v23
	v_fmac_f32_e32 v24, 0x3f6eb680, v49
	v_fmac_f32_e32 v51, 0xbf763a35, v5
	v_add_f32_e32 v24, v24, v25
	v_mul_f32_e32 v25, 0x3f6eb680, v6
	v_fma_f32 v23, v49, s12, -v23
	v_add_f32_e32 v22, v51, v22
	v_mov_b32_e32 v51, v25
	v_add_f32_e32 v23, v23, v28
	v_fmac_f32_e32 v25, 0xbeb8f4ab, v5
	v_mul_f32_e32 v28, 0xbf06c442, v50
	v_add_f32_e32 v25, v25, v29
	v_mov_b32_e32 v29, v28
	v_fmac_f32_e32 v29, 0xbf59a7d5, v49
	v_fmac_f32_e32 v51, 0x3eb8f4ab, v5
	v_add_f32_e32 v29, v29, v30
	v_mul_f32_e32 v30, 0xbf59a7d5, v6
	v_fma_f32 v28, v49, s18, -v28
	v_add_f32_e32 v27, v51, v27
	;; [unrolled: 12-line block ×3, first 2 shown]
	v_mov_b32_e32 v51, v34
	v_add_f32_e32 v32, v32, v36
	v_fmac_f32_e32 v34, 0x3f7ee86f, v5
	v_mul_f32_e32 v36, 0xbf2c7751, v50
	v_add_f32_e32 v34, v34, v37
	v_mov_b32_e32 v37, v36
	v_fmac_f32_e32 v37, 0x3f3d2fb0, v49
	v_add_f32_e32 v35, v35, v56
	v_fmac_f32_e32 v51, 0xbf7ee86f, v5
	v_add_f32_e32 v37, v37, v38
	v_mul_f32_e32 v38, 0x3f3d2fb0, v6
	v_fma_f32 v36, v49, s9, -v36
	v_add_f32_e32 v41, v41, v62
	v_add_f32_e32 v35, v51, v35
	v_mov_b32_e32 v51, v38
	v_add_f32_e32 v36, v36, v40
	v_fmac_f32_e32 v38, 0xbf2c7751, v5
	v_mul_f32_e32 v40, 0xbe3c28d5, v50
	v_add_f32_e32 v38, v38, v41
	v_mov_b32_e32 v41, v40
	v_add_f32_e32 v42, v42, v54
	v_fmac_f32_e32 v41, 0xbf7ba420, v49
	v_add_f32_e32 v39, v39, v58
	v_fmac_f32_e32 v51, 0x3f2c7751, v5
	v_add_f32_e32 v41, v41, v42
	v_mul_f32_e32 v42, 0xbf7ba420, v6
	v_fma_f32 v40, v49, s22, -v40
	v_add_f32_e32 v45, v45, v57
	v_add_f32_e32 v39, v51, v39
	v_mov_b32_e32 v51, v42
	v_add_f32_e32 v40, v40, v44
	v_fmac_f32_e32 v42, 0xbe3c28d5, v5
	v_mul_f32_e32 v44, 0x3f65296c, v50
	v_add_f32_e32 v42, v42, v45
	v_mov_b32_e32 v45, v44
	v_add_f32_e32 v46, v46, v55
	v_fmac_f32_e32 v45, 0x3ee437d1, v49
	v_mul_f32_e32 v6, 0x3ee437d1, v6
	v_add_f32_e32 v45, v45, v46
	v_mov_b32_e32 v46, v6
	v_fmac_f32_e32 v6, 0x3f65296c, v5
	v_fmac_f32_e32 v51, 0x3e3c28d5, v5
	;; [unrolled: 1-line block ×3, first 2 shown]
	v_add_f32_e32 v5, v6, v16
	v_add_f32_e32 v16, v10, v8
	v_sub_f32_e32 v8, v8, v10
	v_add_f32_e32 v15, v15, v63
	v_fma_f32 v44, v49, s16, -v44
	v_add_f32_e32 v6, v9, v7
	v_sub_f32_e32 v7, v7, v9
	v_mul_f32_e32 v9, 0xbf06c442, v8
	v_add_f32_e32 v47, v47, v59
	v_add_f32_e32 v15, v44, v15
	v_mov_b32_e32 v10, v9
	v_mul_f32_e32 v44, 0xbf59a7d5, v16
	v_fma_f32 v9, v6, s18, -v9
	v_add_f32_e32 v46, v46, v47
	v_mov_b32_e32 v47, v44
	v_add_f32_e32 v9, v9, v18
	v_fmac_f32_e32 v44, 0xbf06c442, v7
	v_mul_f32_e32 v18, 0x3f65296c, v8
	v_add_f32_e32 v11, v44, v11
	v_mov_b32_e32 v44, v18
	v_fmac_f32_e32 v44, 0x3ee437d1, v6
	v_fmac_f32_e32 v47, 0x3f06c442, v7
	v_add_f32_e32 v20, v44, v20
	v_mul_f32_e32 v44, 0x3ee437d1, v16
	v_add_f32_e32 v12, v47, v12
	v_mov_b32_e32 v47, v44
	v_fma_f32 v18, v6, s16, -v18
	v_fmac_f32_e32 v44, 0x3f65296c, v7
	v_add_f32_e32 v18, v18, v19
	v_add_f32_e32 v19, v44, v21
	v_mul_f32_e32 v21, 0xbf7ee86f, v8
	v_mov_b32_e32 v44, v21
	v_fmac_f32_e32 v44, 0x3dbcf732, v6
	v_fmac_f32_e32 v47, 0xbf65296c, v7
	v_add_f32_e32 v24, v44, v24
	v_mul_f32_e32 v44, 0x3dbcf732, v16
	v_add_f32_e32 v22, v47, v22
	v_mov_b32_e32 v47, v44
	v_fma_f32 v21, v6, s13, -v21
	v_fmac_f32_e32 v44, 0xbf7ee86f, v7
	v_fmac_f32_e32 v47, 0x3f7ee86f, v7
	v_add_f32_e32 v21, v21, v23
	v_add_f32_e32 v23, v44, v25
	v_mul_f32_e32 v25, 0x3f4c4adb, v8
	v_add_f32_e32 v47, v47, v27
	v_mov_b32_e32 v27, v25
	v_fmac_f32_e32 v27, 0xbf1a4643, v6
	v_add_f32_e32 v44, v27, v29
	v_mul_f32_e32 v27, 0xbf1a4643, v16
	v_mov_b32_e32 v29, v27
	v_fmac_f32_e32 v27, 0x3f4c4adb, v7
	v_fmac_f32_e32 v52, 0xbf1a4643, v49
	v_fma_f32 v25, v6, s17, -v25
	v_add_f32_e32 v49, v27, v30
	v_mul_f32_e32 v27, 0xbeb8f4ab, v8
	v_add_f32_e32 v25, v25, v28
	v_mov_b32_e32 v28, v27
	v_fmac_f32_e32 v28, 0x3f6eb680, v6
	v_add_f32_e32 v48, v52, v48
	v_fmac_f32_e32 v10, 0xbf59a7d5, v6
	v_fmac_f32_e32 v29, 0xbf4c4adb, v7
	v_add_f32_e32 v50, v28, v33
	v_mul_f32_e32 v28, 0x3f6eb680, v16
	v_fma_f32 v27, v6, s12, -v27
	v_add_f32_e32 v10, v10, v48
	v_add_f32_e32 v48, v29, v31
	v_mov_b32_e32 v29, v28
	v_add_f32_e32 v52, v27, v32
	v_fmac_f32_e32 v28, 0xbeb8f4ab, v7
	v_mul_f32_e32 v27, 0xbe3c28d5, v8
	v_add_f32_e32 v53, v28, v34
	v_mov_b32_e32 v28, v27
	v_fmac_f32_e32 v28, 0xbf7ba420, v6
	v_add_f32_e32 v43, v43, v60
	v_fmac_f32_e32 v29, 0x3eb8f4ab, v7
	v_add_f32_e32 v37, v28, v37
	v_mul_f32_e32 v28, 0xbf7ba420, v16
	v_fma_f32 v27, v6, s22, -v27
	v_add_f32_e32 v43, v51, v43
	v_add_f32_e32 v51, v29, v35
	v_mov_b32_e32 v29, v28
	v_add_f32_e32 v54, v27, v36
	v_fmac_f32_e32 v28, 0xbe3c28d5, v7
	v_mul_f32_e32 v27, 0x3f2c7751, v8
	v_add_f32_e32 v38, v28, v38
	v_mov_b32_e32 v28, v27
	v_fma_f32 v27, v6, s9, -v27
	v_mul_f32_e32 v8, 0xbf763a35, v8
	v_fmac_f32_e32 v28, 0x3f3d2fb0, v6
	v_add_f32_e32 v40, v27, v40
	v_mov_b32_e32 v27, v8
	v_sub_f32_e32 v60, v2, v4
	v_add_f32_e32 v41, v28, v41
	v_mul_f32_e32 v28, 0x3f3d2fb0, v16
	v_fmac_f32_e32 v27, 0xbe8c1d8e, v6
	v_mul_f32_e32 v16, 0xbe8c1d8e, v16
	v_add_f32_e32 v57, v3, v1
	v_sub_f32_e32 v59, v1, v3
	v_mul_f32_e32 v1, 0xbe3c28d5, v60
	v_add_f32_e32 v45, v27, v45
	v_mov_b32_e32 v27, v16
	v_add_f32_e32 v58, v4, v2
	v_mov_b32_e32 v2, v1
	v_fmac_f32_e32 v27, 0x3f763a35, v7
	v_fmac_f32_e32 v2, 0xbf7ba420, v57
	v_add_f32_e32 v46, v27, v46
	v_add_f32_e32 v27, v2, v10
	v_mul_f32_e32 v2, 0xbf7ba420, v58
	v_fmac_f32_e32 v29, 0x3e3c28d5, v7
	v_mov_b32_e32 v3, v2
	v_add_f32_e32 v39, v29, v39
	v_mov_b32_e32 v29, v28
	v_fmac_f32_e32 v28, 0x3f2c7751, v7
	v_fmac_f32_e32 v3, 0x3e3c28d5, v59
	v_add_f32_e32 v42, v28, v42
	v_add_f32_e32 v28, v3, v12
	v_mul_f32_e32 v3, 0x3eb8f4ab, v60
	v_mov_b32_e32 v4, v3
	v_fmac_f32_e32 v29, 0xbf2c7751, v7
	v_fmac_f32_e32 v4, 0x3f6eb680, v57
	v_add_f32_e32 v43, v29, v43
	v_fmac_f32_e32 v16, 0xbf763a35, v7
	v_add_f32_e32 v29, v4, v20
	v_mul_f32_e32 v4, 0x3f6eb680, v58
	v_add_f32_e32 v56, v16, v5
	v_mov_b32_e32 v5, v4
	v_fmac_f32_e32 v5, 0xbeb8f4ab, v59
	v_fma_f32 v6, v6, s15, -v8
	v_add_f32_e32 v30, v5, v22
	v_mul_f32_e32 v5, 0xbf06c442, v60
	v_add_f32_e32 v55, v6, v15
	v_mov_b32_e32 v6, v5
	v_fmac_f32_e32 v6, 0xbf59a7d5, v57
	v_add_f32_e32 v31, v6, v24
	v_mul_f32_e32 v6, 0xbf59a7d5, v58
	v_mov_b32_e32 v7, v6
	v_fmac_f32_e32 v7, 0x3f06c442, v59
	v_add_f32_e32 v32, v7, v47
	v_mul_f32_e32 v7, 0x3f2c7751, v60
	v_mov_b32_e32 v8, v7
	v_fmac_f32_e32 v8, 0x3f3d2fb0, v57
	v_fma_f32 v1, v57, s22, -v1
	v_add_f32_e32 v33, v8, v44
	v_mul_f32_e32 v8, 0x3f3d2fb0, v58
	v_add_f32_e32 v1, v1, v9
	v_mov_b32_e32 v9, v8
	v_fmac_f32_e32 v9, 0xbf2c7751, v59
	v_add_f32_e32 v34, v9, v48
	v_mul_f32_e32 v9, 0xbf4c4adb, v60
	v_mov_b32_e32 v10, v9
	v_fmac_f32_e32 v10, 0xbf1a4643, v57
	v_fmac_f32_e32 v2, 0xbe3c28d5, v59
	v_add_f32_e32 v35, v10, v50
	v_mul_f32_e32 v10, 0xbf1a4643, v58
	v_add_f32_e32 v2, v2, v11
	v_mov_b32_e32 v11, v10
	v_fma_f32 v3, v57, s12, -v3
	v_fmac_f32_e32 v11, 0x3f4c4adb, v59
	v_add_f32_e32 v3, v3, v18
	v_fmac_f32_e32 v4, 0x3eb8f4ab, v59
	v_add_f32_e32 v36, v11, v51
	v_mul_f32_e32 v11, 0x3f65296c, v60
	v_mul_f32_e32 v18, 0xbf763a35, v60
	v_add_f32_e32 v4, v4, v19
	v_mov_b32_e32 v12, v11
	v_mov_b32_e32 v19, v18
	v_fma_f32 v7, v57, s9, -v7
	v_fmac_f32_e32 v12, 0x3ee437d1, v57
	v_fmac_f32_e32 v19, 0xbe8c1d8e, v57
	v_fma_f32 v5, v57, s18, -v5
	v_fmac_f32_e32 v6, 0xbf06c442, v59
	v_add_f32_e32 v7, v7, v25
	v_add_f32_e32 v15, v12, v37
	v_mul_f32_e32 v12, 0x3ee437d1, v58
	v_add_f32_e32 v20, v19, v41
	v_mul_f32_e32 v19, 0xbe8c1d8e, v58
	v_mul_f32_e32 v24, 0x3f7ee86f, v60
	;; [unrolled: 1-line block ×3, first 2 shown]
	v_add_f32_e32 v5, v5, v21
	v_add_f32_e32 v6, v6, v23
	v_mov_b32_e32 v16, v12
	v_fma_f32 v11, v57, s16, -v11
	v_mov_b32_e32 v21, v19
	v_mov_b32_e32 v22, v24
	;; [unrolled: 1-line block ×3, first 2 shown]
	v_fmac_f32_e32 v16, 0xbf65296c, v59
	v_add_f32_e32 v11, v11, v54
	v_fmac_f32_e32 v12, 0x3f65296c, v59
	v_fmac_f32_e32 v21, 0x3f763a35, v59
	v_fma_f32 v18, v57, s15, -v18
	v_fmac_f32_e32 v19, 0xbf763a35, v59
	v_fmac_f32_e32 v22, 0x3dbcf732, v57
	v_fmac_f32_e32 v23, 0xbf7ee86f, v59
	v_fma_f32 v24, v57, s13, -v24
	v_fmac_f32_e32 v25, 0x3f7ee86f, v59
	v_add_f32_e32 v16, v16, v39
	v_add_f32_e32 v12, v12, v38
	;; [unrolled: 1-line block ×9, first 2 shown]
	s_barrier
	ds_write2_b64 v26, v[13:14], v[27:28] offset1:1
	ds_write2_b64 v26, v[29:30], v[31:32] offset0:2 offset1:3
	ds_write2_b64 v26, v[33:34], v[35:36] offset0:4 offset1:5
	;; [unrolled: 1-line block ×5, first 2 shown]
	v_mul_u32_u24_e32 v11, 0x223, v0
	v_lshrrev_b32_e32 v13, 16, v11
	v_mul_lo_u16_e32 v11, 0x78, v13
	v_sub_u16_e32 v14, v0, v11
	v_mad_u64_u32 v[11:12], s[12:13], s0, v14, 0
	v_fmac_f32_e32 v8, 0x3f2c7751, v59
	v_fma_f32 v9, v57, s17, -v9
	v_fmac_f32_e32 v10, 0xbf4c4adb, v59
	v_add_f32_e32 v8, v8, v49
	v_add_f32_e32 v9, v9, v52
	;; [unrolled: 1-line block ×3, first 2 shown]
	ds_write2_b64 v26, v[9:10], v[7:8] offset0:12 offset1:13
	ds_write2_b64 v26, v[5:6], v[3:4] offset0:14 offset1:15
	ds_write_b64 v26, v[1:2] offset:128
	v_mov_b32_e32 v1, v12
	s_mul_i32 s6, s20, s2
	s_mul_i32 s2, s0, s21
	v_mad_u64_u32 v[1:2], s[0:1], s1, v14, v[1:2]
	s_lshl_b64 s[0:1], s[2:3], 3
	s_add_u32 s2, s10, s0
	v_mov_b32_e32 v12, v1
	v_mul_lo_u16_e32 v1, 18, v14
	s_addc_u32 s3, s11, s1
	s_lshl_b64 s[0:1], s[6:7], 3
	s_mul_i32 s4, s4, s19
	v_lshlrev_b32_e32 v9, 3, v1
	v_lshlrev_b32_e32 v10, 3, v13
	s_add_u32 s2, s2, s0
	v_mul_lo_u32 v16, s14, v13
	v_add3_u32 v1, 0, v9, v10
	s_addc_u32 s3, s3, s1
	s_lshl_b64 s[0:1], s[4:5], 3
	s_waitcnt lgkmcnt(0)
	s_barrier
	ds_read2_b64 v[3:6], v1 offset1:1
	s_add_u32 s0, s2, s0
	v_lshlrev_b64 v[1:2], 3, v[11:12]
	s_addc_u32 s1, s3, s1
	v_mov_b32_e32 v7, s1
	v_add_co_u32_e32 v1, vcc, s0, v1
	v_addc_co_u32_e32 v2, vcc, v7, v2, vcc
	v_lshlrev_b64 v[7:8], 3, v[16:17]
	v_add_u32_e32 v16, s14, v16
	v_add_co_u32_e32 v7, vcc, v1, v7
	v_addc_co_u32_e32 v8, vcc, v2, v8, vcc
	s_waitcnt lgkmcnt(0)
	global_store_dwordx2 v[7:8], v[3:4], off
	v_lshlrev_b64 v[7:8], 3, v[16:17]
	v_add3_u32 v3, 0, v10, v9
	v_add_co_u32_e32 v7, vcc, v1, v7
	v_addc_co_u32_e32 v8, vcc, v2, v8, vcc
	global_store_dwordx2 v[7:8], v[5:6], off
	v_add_u32_e32 v16, s14, v16
	ds_read2_b64 v[4:7], v3 offset0:2 offset1:3
	v_lshlrev_b64 v[8:9], 3, v[16:17]
	v_add_u32_e32 v16, s14, v16
	v_add_co_u32_e32 v12, vcc, v1, v8
	v_addc_co_u32_e32 v13, vcc, v2, v9, vcc
	ds_read2_b64 v[8:11], v3 offset0:4 offset1:5
	s_waitcnt lgkmcnt(1)
	global_store_dwordx2 v[12:13], v[4:5], off
	v_lshlrev_b64 v[4:5], 3, v[16:17]
	v_add_u32_e32 v16, s14, v16
	v_add_co_u32_e32 v4, vcc, v1, v4
	v_addc_co_u32_e32 v5, vcc, v2, v5, vcc
	global_store_dwordx2 v[4:5], v[6:7], off
	v_lshlrev_b64 v[4:5], 3, v[16:17]
	v_add_u32_e32 v16, s14, v16
	v_add_co_u32_e32 v4, vcc, v1, v4
	v_addc_co_u32_e32 v5, vcc, v2, v5, vcc
	s_waitcnt lgkmcnt(0)
	global_store_dwordx2 v[4:5], v[8:9], off
	v_lshlrev_b64 v[4:5], 3, v[16:17]
	v_add_u32_e32 v16, s14, v16
	v_add_co_u32_e32 v4, vcc, v1, v4
	v_addc_co_u32_e32 v5, vcc, v2, v5, vcc
	global_store_dwordx2 v[4:5], v[10:11], off
	ds_read2_b64 v[4:7], v3 offset0:6 offset1:7
	v_lshlrev_b64 v[8:9], 3, v[16:17]
	v_add_u32_e32 v16, s14, v16
	v_add_co_u32_e32 v12, vcc, v1, v8
	v_addc_co_u32_e32 v13, vcc, v2, v9, vcc
	ds_read2_b64 v[8:11], v3 offset0:8 offset1:9
	s_waitcnt lgkmcnt(1)
	global_store_dwordx2 v[12:13], v[4:5], off
	v_lshlrev_b64 v[4:5], 3, v[16:17]
	v_add_u32_e32 v16, s14, v16
	v_add_co_u32_e32 v4, vcc, v1, v4
	v_addc_co_u32_e32 v5, vcc, v2, v5, vcc
	global_store_dwordx2 v[4:5], v[6:7], off
	v_lshlrev_b64 v[4:5], 3, v[16:17]
	v_add_u32_e32 v16, s14, v16
	v_add_co_u32_e32 v4, vcc, v1, v4
	v_addc_co_u32_e32 v5, vcc, v2, v5, vcc
	s_waitcnt lgkmcnt(0)
	global_store_dwordx2 v[4:5], v[8:9], off
	v_lshlrev_b64 v[4:5], 3, v[16:17]
	v_add_u32_e32 v16, s14, v16
	v_add_co_u32_e32 v4, vcc, v1, v4
	v_addc_co_u32_e32 v5, vcc, v2, v5, vcc
	global_store_dwordx2 v[4:5], v[10:11], off
	;; [unrolled: 24-line block ×3, first 2 shown]
	ds_read2_b64 v[4:7], v3 offset0:14 offset1:15
	ds_read_b64 v[10:11], v3 offset:128
	v_lshlrev_b64 v[8:9], 3, v[16:17]
	v_add_u32_e32 v16, s14, v16
	v_add_co_u32_e32 v8, vcc, v1, v8
	v_addc_co_u32_e32 v9, vcc, v2, v9, vcc
	s_waitcnt lgkmcnt(1)
	global_store_dwordx2 v[8:9], v[4:5], off
	v_lshlrev_b64 v[4:5], 3, v[16:17]
	v_add_u32_e32 v16, s14, v16
	v_add_co_u32_e32 v4, vcc, v1, v4
	v_addc_co_u32_e32 v5, vcc, v2, v5, vcc
	global_store_dwordx2 v[4:5], v[6:7], off
	v_lshlrev_b64 v[4:5], 3, v[16:17]
	v_add_co_u32_e32 v4, vcc, v1, v4
	v_addc_co_u32_e32 v5, vcc, v2, v5, vcc
	v_cmp_gt_u32_e32 vcc, s8, v0
	s_waitcnt lgkmcnt(0)
	global_store_dwordx2 v[4:5], v[10:11], off
	s_and_saveexec_b64 s[0:1], vcc
	s_cbranch_execz .LBB0_2
; %bb.1:
	v_add_u32_e32 v16, s14, v16
	ds_read_b64 v[3:4], v3 offset:136
	v_lshlrev_b64 v[5:6], 3, v[16:17]
	v_add_co_u32_e32 v0, vcc, v1, v5
	v_addc_co_u32_e32 v1, vcc, v2, v6, vcc
	s_waitcnt lgkmcnt(0)
	global_store_dwordx2 v[0:1], v[3:4], off
.LBB0_2:
	s_endpgm
	.section	.rodata,"a",@progbits
	.p2align	6, 0x0
	.amdhsa_kernel fft_rtc_back_len17_factors_17_wgs_120_tpt_1_sp_op_CI_CI_sbrc_erc_z_xy_aligned
		.amdhsa_group_segment_fixed_size 0
		.amdhsa_private_segment_fixed_size 0
		.amdhsa_kernarg_size 104
		.amdhsa_user_sgpr_count 6
		.amdhsa_user_sgpr_private_segment_buffer 1
		.amdhsa_user_sgpr_dispatch_ptr 0
		.amdhsa_user_sgpr_queue_ptr 0
		.amdhsa_user_sgpr_kernarg_segment_ptr 1
		.amdhsa_user_sgpr_dispatch_id 0
		.amdhsa_user_sgpr_flat_scratch_init 0
		.amdhsa_user_sgpr_private_segment_size 0
		.amdhsa_uses_dynamic_stack 0
		.amdhsa_system_sgpr_private_segment_wavefront_offset 0
		.amdhsa_system_sgpr_workgroup_id_x 1
		.amdhsa_system_sgpr_workgroup_id_y 0
		.amdhsa_system_sgpr_workgroup_id_z 0
		.amdhsa_system_sgpr_workgroup_info 0
		.amdhsa_system_vgpr_workitem_id 0
		.amdhsa_next_free_vgpr 76
		.amdhsa_next_free_sgpr 28
		.amdhsa_reserve_vcc 1
		.amdhsa_reserve_flat_scratch 0
		.amdhsa_float_round_mode_32 0
		.amdhsa_float_round_mode_16_64 0
		.amdhsa_float_denorm_mode_32 3
		.amdhsa_float_denorm_mode_16_64 3
		.amdhsa_dx10_clamp 1
		.amdhsa_ieee_mode 1
		.amdhsa_fp16_overflow 0
		.amdhsa_exception_fp_ieee_invalid_op 0
		.amdhsa_exception_fp_denorm_src 0
		.amdhsa_exception_fp_ieee_div_zero 0
		.amdhsa_exception_fp_ieee_overflow 0
		.amdhsa_exception_fp_ieee_underflow 0
		.amdhsa_exception_fp_ieee_inexact 0
		.amdhsa_exception_int_div_zero 0
	.end_amdhsa_kernel
	.text
.Lfunc_end0:
	.size	fft_rtc_back_len17_factors_17_wgs_120_tpt_1_sp_op_CI_CI_sbrc_erc_z_xy_aligned, .Lfunc_end0-fft_rtc_back_len17_factors_17_wgs_120_tpt_1_sp_op_CI_CI_sbrc_erc_z_xy_aligned
                                        ; -- End function
	.section	.AMDGPU.csdata,"",@progbits
; Kernel info:
; codeLenInByte = 8648
; NumSgprs: 32
; NumVgprs: 76
; ScratchSize: 0
; MemoryBound: 0
; FloatMode: 240
; IeeeMode: 1
; LDSByteSize: 0 bytes/workgroup (compile time only)
; SGPRBlocks: 3
; VGPRBlocks: 18
; NumSGPRsForWavesPerEU: 32
; NumVGPRsForWavesPerEU: 76
; Occupancy: 3
; WaveLimiterHint : 1
; COMPUTE_PGM_RSRC2:SCRATCH_EN: 0
; COMPUTE_PGM_RSRC2:USER_SGPR: 6
; COMPUTE_PGM_RSRC2:TRAP_HANDLER: 0
; COMPUTE_PGM_RSRC2:TGID_X_EN: 1
; COMPUTE_PGM_RSRC2:TGID_Y_EN: 0
; COMPUTE_PGM_RSRC2:TGID_Z_EN: 0
; COMPUTE_PGM_RSRC2:TIDIG_COMP_CNT: 0
	.type	__hip_cuid_ebc51700a568747a,@object ; @__hip_cuid_ebc51700a568747a
	.section	.bss,"aw",@nobits
	.globl	__hip_cuid_ebc51700a568747a
__hip_cuid_ebc51700a568747a:
	.byte	0                               ; 0x0
	.size	__hip_cuid_ebc51700a568747a, 1

	.ident	"AMD clang version 19.0.0git (https://github.com/RadeonOpenCompute/llvm-project roc-6.4.0 25133 c7fe45cf4b819c5991fe208aaa96edf142730f1d)"
	.section	".note.GNU-stack","",@progbits
	.addrsig
	.addrsig_sym __hip_cuid_ebc51700a568747a
	.amdgpu_metadata
---
amdhsa.kernels:
  - .args:
      - .actual_access:  read_only
        .address_space:  global
        .offset:         0
        .size:           8
        .value_kind:     global_buffer
      - .offset:         8
        .size:           8
        .value_kind:     by_value
      - .actual_access:  read_only
        .address_space:  global
        .offset:         16
        .size:           8
        .value_kind:     global_buffer
      - .actual_access:  read_only
        .address_space:  global
        .offset:         24
        .size:           8
        .value_kind:     global_buffer
      - .actual_access:  read_only
        .address_space:  global
        .offset:         32
        .size:           8
        .value_kind:     global_buffer
      - .offset:         40
        .size:           8
        .value_kind:     by_value
      - .actual_access:  read_only
        .address_space:  global
        .offset:         48
        .size:           8
        .value_kind:     global_buffer
      - .actual_access:  read_only
        .address_space:  global
        .offset:         56
        .size:           8
        .value_kind:     global_buffer
      - .offset:         64
        .size:           4
        .value_kind:     by_value
      - .actual_access:  read_only
        .address_space:  global
        .offset:         72
        .size:           8
        .value_kind:     global_buffer
      - .actual_access:  read_only
        .address_space:  global
        .offset:         80
        .size:           8
        .value_kind:     global_buffer
      - .actual_access:  read_only
        .address_space:  global
        .offset:         88
        .size:           8
        .value_kind:     global_buffer
      - .actual_access:  write_only
        .address_space:  global
        .offset:         96
        .size:           8
        .value_kind:     global_buffer
    .group_segment_fixed_size: 0
    .kernarg_segment_align: 8
    .kernarg_segment_size: 104
    .language:       OpenCL C
    .language_version:
      - 2
      - 0
    .max_flat_workgroup_size: 120
    .name:           fft_rtc_back_len17_factors_17_wgs_120_tpt_1_sp_op_CI_CI_sbrc_erc_z_xy_aligned
    .private_segment_fixed_size: 0
    .sgpr_count:     32
    .sgpr_spill_count: 0
    .symbol:         fft_rtc_back_len17_factors_17_wgs_120_tpt_1_sp_op_CI_CI_sbrc_erc_z_xy_aligned.kd
    .uniform_work_group_size: 1
    .uses_dynamic_stack: false
    .vgpr_count:     76
    .vgpr_spill_count: 0
    .wavefront_size: 64
amdhsa.target:   amdgcn-amd-amdhsa--gfx906
amdhsa.version:
  - 1
  - 2
...

	.end_amdgpu_metadata
